;; amdgpu-corpus repo=ROCm/rocFFT kind=compiled arch=gfx906 opt=O3
	.text
	.amdgcn_target "amdgcn-amd-amdhsa--gfx906"
	.amdhsa_code_object_version 6
	.protected	fft_rtc_fwd_len1920_factors_10_6_16_2_wgs_240_tpt_120_halfLds_half_op_CI_CI_unitstride_sbrr_dirReg ; -- Begin function fft_rtc_fwd_len1920_factors_10_6_16_2_wgs_240_tpt_120_halfLds_half_op_CI_CI_unitstride_sbrr_dirReg
	.globl	fft_rtc_fwd_len1920_factors_10_6_16_2_wgs_240_tpt_120_halfLds_half_op_CI_CI_unitstride_sbrr_dirReg
	.p2align	8
	.type	fft_rtc_fwd_len1920_factors_10_6_16_2_wgs_240_tpt_120_halfLds_half_op_CI_CI_unitstride_sbrr_dirReg,@function
fft_rtc_fwd_len1920_factors_10_6_16_2_wgs_240_tpt_120_halfLds_half_op_CI_CI_unitstride_sbrr_dirReg: ; @fft_rtc_fwd_len1920_factors_10_6_16_2_wgs_240_tpt_120_halfLds_half_op_CI_CI_unitstride_sbrr_dirReg
; %bb.0:
	s_load_dwordx4 s[8:11], s[4:5], 0x58
	s_load_dwordx4 s[12:15], s[4:5], 0x0
	;; [unrolled: 1-line block ×3, first 2 shown]
	v_mul_u32_u24_e32 v1, 0x223, v0
	v_lshrrev_b32_e32 v11, 16, v1
	v_mov_b32_e32 v3, 0
	s_waitcnt lgkmcnt(0)
	v_cmp_lt_u64_e64 s[0:1], s[14:15], 2
	v_mov_b32_e32 v7, 0
	v_lshl_add_u32 v9, s6, 1, v11
	v_mov_b32_e32 v10, v3
	s_and_b64 vcc, exec, s[0:1]
	v_mov_b32_e32 v8, 0
	s_cbranch_vccnz .LBB0_8
; %bb.1:
	s_load_dwordx2 s[0:1], s[4:5], 0x10
	s_add_u32 s2, s18, 8
	s_addc_u32 s3, s19, 0
	s_add_u32 s6, s16, 8
	s_addc_u32 s7, s17, 0
	v_mov_b32_e32 v7, 0
	s_waitcnt lgkmcnt(0)
	s_add_u32 s20, s0, 8
	v_mov_b32_e32 v8, 0
	v_mov_b32_e32 v1, v7
	s_addc_u32 s21, s1, 0
	s_mov_b64 s[22:23], 1
	v_mov_b32_e32 v2, v8
.LBB0_2:                                ; =>This Inner Loop Header: Depth=1
	s_load_dwordx2 s[24:25], s[20:21], 0x0
                                        ; implicit-def: $vgpr5_vgpr6
	s_waitcnt lgkmcnt(0)
	v_or_b32_e32 v4, s25, v10
	v_cmp_ne_u64_e32 vcc, 0, v[3:4]
	s_and_saveexec_b64 s[0:1], vcc
	s_xor_b64 s[26:27], exec, s[0:1]
	s_cbranch_execz .LBB0_4
; %bb.3:                                ;   in Loop: Header=BB0_2 Depth=1
	v_cvt_f32_u32_e32 v4, s24
	v_cvt_f32_u32_e32 v5, s25
	s_sub_u32 s0, 0, s24
	s_subb_u32 s1, 0, s25
	v_mac_f32_e32 v4, 0x4f800000, v5
	v_rcp_f32_e32 v4, v4
	v_mul_f32_e32 v4, 0x5f7ffffc, v4
	v_mul_f32_e32 v5, 0x2f800000, v4
	v_trunc_f32_e32 v5, v5
	v_mac_f32_e32 v4, 0xcf800000, v5
	v_cvt_u32_f32_e32 v5, v5
	v_cvt_u32_f32_e32 v4, v4
	v_mul_lo_u32 v6, s0, v5
	v_mul_hi_u32 v12, s0, v4
	v_mul_lo_u32 v14, s1, v4
	v_mul_lo_u32 v13, s0, v4
	v_add_u32_e32 v6, v12, v6
	v_add_u32_e32 v6, v6, v14
	v_mul_hi_u32 v12, v4, v13
	v_mul_lo_u32 v14, v4, v6
	v_mul_hi_u32 v16, v4, v6
	v_mul_hi_u32 v15, v5, v13
	v_mul_lo_u32 v13, v5, v13
	v_mul_hi_u32 v17, v5, v6
	v_add_co_u32_e32 v12, vcc, v12, v14
	v_addc_co_u32_e32 v14, vcc, 0, v16, vcc
	v_mul_lo_u32 v6, v5, v6
	v_add_co_u32_e32 v12, vcc, v12, v13
	v_addc_co_u32_e32 v12, vcc, v14, v15, vcc
	v_addc_co_u32_e32 v13, vcc, 0, v17, vcc
	v_add_co_u32_e32 v6, vcc, v12, v6
	v_addc_co_u32_e32 v12, vcc, 0, v13, vcc
	v_add_co_u32_e32 v4, vcc, v4, v6
	v_addc_co_u32_e32 v5, vcc, v5, v12, vcc
	v_mul_lo_u32 v6, s0, v5
	v_mul_hi_u32 v12, s0, v4
	v_mul_lo_u32 v13, s1, v4
	v_mul_lo_u32 v14, s0, v4
	v_add_u32_e32 v6, v12, v6
	v_add_u32_e32 v6, v6, v13
	v_mul_lo_u32 v15, v4, v6
	v_mul_hi_u32 v16, v4, v14
	v_mul_hi_u32 v17, v4, v6
	;; [unrolled: 1-line block ×3, first 2 shown]
	v_mul_lo_u32 v14, v5, v14
	v_mul_hi_u32 v12, v5, v6
	v_add_co_u32_e32 v15, vcc, v16, v15
	v_addc_co_u32_e32 v16, vcc, 0, v17, vcc
	v_mul_lo_u32 v6, v5, v6
	v_add_co_u32_e32 v14, vcc, v15, v14
	v_addc_co_u32_e32 v13, vcc, v16, v13, vcc
	v_addc_co_u32_e32 v12, vcc, 0, v12, vcc
	v_add_co_u32_e32 v6, vcc, v13, v6
	v_addc_co_u32_e32 v12, vcc, 0, v12, vcc
	v_add_co_u32_e32 v6, vcc, v4, v6
	v_addc_co_u32_e32 v12, vcc, v5, v12, vcc
	v_mad_u64_u32 v[4:5], s[0:1], v9, v12, 0
	v_mul_hi_u32 v13, v9, v6
	v_add_co_u32_e32 v14, vcc, v13, v4
	v_addc_co_u32_e32 v15, vcc, 0, v5, vcc
	v_mad_u64_u32 v[4:5], s[0:1], v10, v6, 0
	v_mad_u64_u32 v[12:13], s[0:1], v10, v12, 0
	v_add_co_u32_e32 v4, vcc, v14, v4
	v_addc_co_u32_e32 v4, vcc, v15, v5, vcc
	v_addc_co_u32_e32 v5, vcc, 0, v13, vcc
	v_add_co_u32_e32 v12, vcc, v4, v12
	v_addc_co_u32_e32 v6, vcc, 0, v5, vcc
	v_mul_lo_u32 v13, s25, v12
	v_mul_lo_u32 v14, s24, v6
	v_mad_u64_u32 v[4:5], s[0:1], s24, v12, 0
	v_add3_u32 v5, v5, v14, v13
	v_sub_u32_e32 v13, v10, v5
	v_mov_b32_e32 v14, s25
	v_sub_co_u32_e32 v4, vcc, v9, v4
	v_subb_co_u32_e64 v13, s[0:1], v13, v14, vcc
	v_subrev_co_u32_e64 v14, s[0:1], s24, v4
	v_subbrev_co_u32_e64 v13, s[0:1], 0, v13, s[0:1]
	v_cmp_le_u32_e64 s[0:1], s25, v13
	v_cndmask_b32_e64 v15, 0, -1, s[0:1]
	v_cmp_le_u32_e64 s[0:1], s24, v14
	v_cndmask_b32_e64 v14, 0, -1, s[0:1]
	v_cmp_eq_u32_e64 s[0:1], s25, v13
	v_cndmask_b32_e64 v13, v15, v14, s[0:1]
	v_add_co_u32_e64 v14, s[0:1], 2, v12
	v_addc_co_u32_e64 v15, s[0:1], 0, v6, s[0:1]
	v_add_co_u32_e64 v16, s[0:1], 1, v12
	v_addc_co_u32_e64 v17, s[0:1], 0, v6, s[0:1]
	v_subb_co_u32_e32 v5, vcc, v10, v5, vcc
	v_cmp_ne_u32_e64 s[0:1], 0, v13
	v_cmp_le_u32_e32 vcc, s25, v5
	v_cndmask_b32_e64 v13, v17, v15, s[0:1]
	v_cndmask_b32_e64 v15, 0, -1, vcc
	v_cmp_le_u32_e32 vcc, s24, v4
	v_cndmask_b32_e64 v4, 0, -1, vcc
	v_cmp_eq_u32_e32 vcc, s25, v5
	v_cndmask_b32_e32 v4, v15, v4, vcc
	v_cmp_ne_u32_e32 vcc, 0, v4
	v_cndmask_b32_e64 v4, v16, v14, s[0:1]
	v_cndmask_b32_e32 v6, v6, v13, vcc
	v_cndmask_b32_e32 v5, v12, v4, vcc
.LBB0_4:                                ;   in Loop: Header=BB0_2 Depth=1
	s_andn2_saveexec_b64 s[0:1], s[26:27]
	s_cbranch_execz .LBB0_6
; %bb.5:                                ;   in Loop: Header=BB0_2 Depth=1
	v_cvt_f32_u32_e32 v4, s24
	s_sub_i32 s26, 0, s24
	v_rcp_iflag_f32_e32 v4, v4
	v_mul_f32_e32 v4, 0x4f7ffffe, v4
	v_cvt_u32_f32_e32 v4, v4
	v_mul_lo_u32 v5, s26, v4
	v_mul_hi_u32 v5, v4, v5
	v_add_u32_e32 v4, v4, v5
	v_mul_hi_u32 v4, v9, v4
	v_mul_lo_u32 v5, v4, s24
	v_add_u32_e32 v6, 1, v4
	v_sub_u32_e32 v5, v9, v5
	v_subrev_u32_e32 v12, s24, v5
	v_cmp_le_u32_e32 vcc, s24, v5
	v_cndmask_b32_e32 v5, v5, v12, vcc
	v_cndmask_b32_e32 v4, v4, v6, vcc
	v_add_u32_e32 v6, 1, v4
	v_cmp_le_u32_e32 vcc, s24, v5
	v_cndmask_b32_e32 v5, v4, v6, vcc
	v_mov_b32_e32 v6, v3
.LBB0_6:                                ;   in Loop: Header=BB0_2 Depth=1
	s_or_b64 exec, exec, s[0:1]
	v_mul_lo_u32 v4, v6, s24
	v_mul_lo_u32 v14, v5, s25
	v_mad_u64_u32 v[12:13], s[0:1], v5, s24, 0
	s_load_dwordx2 s[0:1], s[6:7], 0x0
	s_load_dwordx2 s[24:25], s[2:3], 0x0
	v_add3_u32 v4, v13, v14, v4
	v_sub_co_u32_e32 v9, vcc, v9, v12
	v_subb_co_u32_e32 v4, vcc, v10, v4, vcc
	s_waitcnt lgkmcnt(0)
	v_mul_lo_u32 v10, s0, v4
	v_mul_lo_u32 v12, s1, v9
	v_mad_u64_u32 v[7:8], s[0:1], s0, v9, v[7:8]
	s_add_u32 s22, s22, 1
	s_addc_u32 s23, s23, 0
	s_add_u32 s2, s2, 8
	v_mul_lo_u32 v4, s24, v4
	v_mul_lo_u32 v13, s25, v9
	v_mad_u64_u32 v[1:2], s[0:1], s24, v9, v[1:2]
	v_add3_u32 v8, v12, v8, v10
	s_addc_u32 s3, s3, 0
	v_mov_b32_e32 v9, s14
	s_add_u32 s6, s6, 8
	v_mov_b32_e32 v10, s15
	s_addc_u32 s7, s7, 0
	v_cmp_ge_u64_e32 vcc, s[22:23], v[9:10]
	s_add_u32 s20, s20, 8
	v_add3_u32 v2, v13, v2, v4
	s_addc_u32 s21, s21, 0
	s_cbranch_vccnz .LBB0_9
; %bb.7:                                ;   in Loop: Header=BB0_2 Depth=1
	v_mov_b32_e32 v10, v6
	v_mov_b32_e32 v9, v5
	s_branch .LBB0_2
.LBB0_8:
	v_mov_b32_e32 v1, v7
	v_mov_b32_e32 v5, v9
	;; [unrolled: 1-line block ×4, first 2 shown]
.LBB0_9:
	s_load_dwordx2 s[2:3], s[4:5], 0x28
	s_lshl_b64 s[6:7], s[14:15], 3
	s_add_u32 s4, s18, s6
	s_addc_u32 s5, s19, s7
                                        ; implicit-def: $vgpr3
	s_waitcnt lgkmcnt(0)
	v_cmp_gt_u64_e64 s[0:1], s[2:3], v[5:6]
	v_cmp_le_u64_e32 vcc, s[2:3], v[5:6]
	s_and_saveexec_b64 s[2:3], vcc
	s_xor_b64 s[2:3], exec, s[2:3]
; %bb.10:
	s_mov_b32 s14, 0x2222223
	v_mul_hi_u32 v3, v0, s14
                                        ; implicit-def: $vgpr7_vgpr8
	v_mul_u32_u24_e32 v3, 0x78, v3
	v_sub_u32_e32 v3, v0, v3
                                        ; implicit-def: $vgpr0
; %bb.11:
	s_or_saveexec_b64 s[2:3], s[2:3]
	s_load_dwordx2 s[4:5], s[4:5], 0x0
                                        ; implicit-def: $vgpr29
                                        ; implicit-def: $vgpr23
                                        ; implicit-def: $vgpr30
                                        ; implicit-def: $vgpr24
                                        ; implicit-def: $vgpr4
                                        ; implicit-def: $vgpr19
                                        ; implicit-def: $vgpr20
                                        ; implicit-def: $vgpr12
                                        ; implicit-def: $vgpr22
                                        ; implicit-def: $vgpr10
                                        ; implicit-def: $vgpr21
                                        ; implicit-def: $vgpr18
                                        ; implicit-def: $vgpr16
                                        ; implicit-def: $vgpr14
                                        ; implicit-def: $vgpr17
                                        ; implicit-def: $vgpr13
                                        ; implicit-def: $vgpr15
                                        ; implicit-def: $vgpr9
                                        ; implicit-def: $vgpr31
                                        ; implicit-def: $vgpr32
                                        ; implicit-def: $vgpr33
                                        ; implicit-def: $vgpr34
                                        ; implicit-def: $vgpr36
                                        ; implicit-def: $vgpr37
                                        ; implicit-def: $vgpr25
                                        ; implicit-def: $vgpr26
	s_xor_b64 exec, exec, s[2:3]
	s_cbranch_execz .LBB0_15
; %bb.12:
	s_add_u32 s6, s16, s6
	s_addc_u32 s7, s17, s7
	s_load_dwordx2 s[6:7], s[6:7], 0x0
	s_mov_b32 s14, 0x2222223
	v_mul_hi_u32 v3, v0, s14
	v_lshlrev_b64 v[7:8], 2, v[7:8]
                                        ; implicit-def: $vgpr17
                                        ; implicit-def: $vgpr16
                                        ; implicit-def: $vgpr18
                                        ; implicit-def: $vgpr21
                                        ; implicit-def: $vgpr22
                                        ; implicit-def: $vgpr20
                                        ; implicit-def: $vgpr19
	s_waitcnt lgkmcnt(0)
	v_mul_lo_u32 v4, s7, v5
	v_mul_lo_u32 v12, s6, v6
	v_mad_u64_u32 v[9:10], s[6:7], s6, v5, 0
	v_mul_u32_u24_e32 v3, 0x78, v3
	v_sub_u32_e32 v3, v0, v3
	v_add3_u32 v10, v10, v12, v4
	v_lshlrev_b64 v[9:10], 2, v[9:10]
	v_mov_b32_e32 v0, s9
	v_add_co_u32_e32 v4, vcc, s8, v9
	v_addc_co_u32_e32 v0, vcc, v0, v10, vcc
	v_add_co_u32_e32 v4, vcc, v4, v7
	v_addc_co_u32_e32 v14, vcc, v0, v8, vcc
	v_lshlrev_b32_e32 v15, 2, v3
	v_add_co_u32_e32 v7, vcc, v4, v15
	v_addc_co_u32_e32 v8, vcc, 0, v14, vcc
	v_or_b32_e32 v0, 0x1200, v15
	v_add_co_u32_e32 v9, vcc, v4, v0
	v_addc_co_u32_e32 v10, vcc, 0, v14, vcc
	s_movk_i32 s6, 0x1000
	v_add_co_u32_e32 v12, vcc, s6, v7
	v_addc_co_u32_e32 v13, vcc, 0, v8, vcc
	global_load_dword v23, v[7:8], off
	global_load_dword v24, v[7:8], off offset:768
	global_load_dword v26, v[7:8], off offset:1536
	;; [unrolled: 1-line block ×5, first 2 shown]
	global_load_dword v34, v[9:10], off
	global_load_dword v28, v[12:13], off offset:1280
	v_or_b32_e32 v9, 0x1800, v15
	v_add_co_u32_e32 v9, vcc, v4, v9
	v_addc_co_u32_e32 v10, vcc, 0, v14, vcc
	global_load_dword v36, v[9:10], off
	global_load_dword v35, v[12:13], off offset:2816
	s_movk_i32 s6, 0x48
	v_cmp_gt_u32_e32 vcc, s6, v3
	s_mov_b32 s9, 0x7060302
	s_mov_b32 s8, 0x5040100
                                        ; implicit-def: $vgpr9
                                        ; implicit-def: $vgpr15
                                        ; implicit-def: $vgpr13
                                        ; implicit-def: $vgpr14
                                        ; implicit-def: $vgpr10
                                        ; implicit-def: $vgpr12
                                        ; implicit-def: $vgpr4
	s_and_saveexec_b64 s[6:7], vcc
	s_cbranch_execz .LBB0_14
; %bb.13:
	global_load_dword v4, v[7:8], off offset:480
	global_load_dword v16, v[7:8], off offset:2016
	;; [unrolled: 1-line block ×3, first 2 shown]
	v_add_co_u32_e32 v19, vcc, 0x1000, v7
	v_addc_co_u32_e32 v20, vcc, 0, v8, vcc
	global_load_dword v10, v[19:20], off offset:2528
	global_load_dword v13, v[19:20], off offset:1760
	;; [unrolled: 1-line block ×7, first 2 shown]
	s_mov_b32 s14, 0xffff
	s_waitcnt vmcnt(6)
	v_lshrrev_b32_e32 v22, 16, v10
	v_lshrrev_b32_e32 v19, 16, v16
	;; [unrolled: 1-line block ×3, first 2 shown]
	s_waitcnt vmcnt(4)
	v_lshrrev_b32_e32 v21, 16, v18
	v_bfi_b32 v16, s14, v16, v4
.LBB0_14:
	s_or_b64 exec, exec, s[6:7]
	s_waitcnt vmcnt(9)
	v_lshrrev_b32_e32 v29, 16, v23
	s_waitcnt vmcnt(8)
	v_lshrrev_b32_e32 v30, 16, v24
	s_waitcnt vmcnt(5)
	v_perm_b32 v31, v27, v26, s9
	s_waitcnt vmcnt(1)
	v_perm_b32 v32, v34, v36, s9
	v_perm_b32 v33, v27, v26, s8
	;; [unrolled: 1-line block ×4, first 2 shown]
	s_waitcnt vmcnt(0)
	v_perm_b32 v37, v28, v35, s9
	v_perm_b32 v25, v25, v0, s8
	;; [unrolled: 1-line block ×3, first 2 shown]
.LBB0_15:
	s_or_b64 exec, exec, s[2:3]
	v_pk_add_f16 v7, v25, v26
	v_pk_fma_f16 v7, v7, 0.5, v24 op_sel_hi:[1,0,0] neg_lo:[1,0,0] neg_hi:[1,0,0]
	v_add_f16_e32 v24, v25, v24
	v_pk_add_f16 v0, v36, v37 neg_lo:[0,1] neg_hi:[0,1]
	s_movk_i32 s2, 0x3b9c
	v_pk_add_f16 v8, v25, v25 op_sel:[0,1] op_sel_hi:[1,0] neg_lo:[0,1] neg_hi:[0,1]
	v_pk_add_f16 v27, v26, v26 op_sel:[0,1] op_sel_hi:[1,0] neg_lo:[0,1] neg_hi:[0,1]
	v_add_f16_sdwa v24, v24, v25 dst_sel:DWORD dst_unused:UNUSED_PAD src0_sel:DWORD src1_sel:WORD_1
	v_pk_add_f16 v8, v8, v27
	v_pk_mul_f16 v27, v0, s2 op_sel_hi:[1,0]
	v_add_f16_sdwa v24, v24, v26 dst_sel:DWORD dst_unused:UNUSED_PAD src0_sel:DWORD src1_sel:WORD_1
	v_pk_add_f16 v28, v7, v27 op_sel:[0,1] op_sel_hi:[1,0]
	v_pk_add_f16 v7, v7, v27 op_sel:[0,1] op_sel_hi:[1,0] neg_lo:[0,1] neg_hi:[0,1]
	v_add_f16_e32 v24, v24, v26
	v_pk_add_f16 v25, v25, v26 neg_lo:[0,1] neg_hi:[0,1]
	v_pk_add_f16 v26, v36, v36 op_sel:[0,1] op_sel_hi:[1,0] neg_lo:[0,1] neg_hi:[0,1]
	v_pk_add_f16 v27, v37, v37 op_sel:[0,1] op_sel_hi:[1,0] neg_lo:[0,1] neg_hi:[0,1]
	s_movk_i32 s3, 0x38b4
	v_pk_add_f16 v26, v26, v27
	v_alignbit_b32 v27, v7, v28, 16
	v_alignbit_b32 v7, v28, v7, 16
	v_pk_mul_f16 v0, v0, s3 op_sel_hi:[1,0]
	v_pk_add_f16 v27, v0, v27 op_sel:[1,0] op_sel_hi:[0,1]
	v_pk_add_f16 v0, v7, v0 op_sel:[0,1] op_sel_hi:[1,0] neg_lo:[0,1] neg_hi:[0,1]
	v_pk_add_f16 v7, v36, v37
	s_movk_i32 s6, 0x34f2
	v_pk_fma_f16 v7, v7, 0.5, v30 op_sel_hi:[1,0,0] neg_lo:[1,0,0] neg_hi:[1,0,0]
	v_pk_fma_f16 v44, v8, s6, v0 op_sel_hi:[1,0,1]
	v_pk_fma_f16 v0, v25, s2, v7 op_sel:[0,0,1] op_sel_hi:[1,0,0] neg_lo:[1,0,0] neg_hi:[1,0,0]
	v_pk_fma_f16 v7, v25, s2, v7 op_sel:[0,0,1] op_sel_hi:[1,0,0]
	s_mov_b32 s7, 0xffff
	v_pk_fma_f16 v45, v8, s6, v27 op_sel_hi:[1,0,1]
	v_bfi_b32 v8, s7, v0, v7
	v_bfi_b32 v0, s7, v7, v0
	v_pk_mul_f16 v7, v25, s3 op_sel_hi:[1,0]
	v_pk_add_f16 v0, v7, v0 op_sel:[1,0] op_sel_hi:[0,1]
	v_pk_add_f16 v8, v8, v7 op_sel:[0,1] op_sel_hi:[1,0] neg_lo:[0,1] neg_hi:[0,1]
	v_pk_fma_f16 v47, v26, s6, v0 op_sel_hi:[1,0,1]
	v_pk_add_f16 v0, v33, v33 op_sel:[0,1] op_sel_hi:[1,0] neg_lo:[0,1] neg_hi:[0,1]
	v_pk_add_f16 v7, v34, v34 op_sel:[0,1] op_sel_hi:[1,0] neg_lo:[0,1] neg_hi:[0,1]
	v_pk_fma_f16 v48, v26, s6, v8 op_sel_hi:[1,0,1]
	v_pk_add_f16 v0, v0, v7
	v_pk_add_f16 v7, v33, v34
	v_pk_add_f16 v8, v31, v32 neg_lo:[0,1] neg_hi:[0,1]
	v_pk_fma_f16 v7, v7, 0.5, v23 op_sel_hi:[1,0,0] neg_lo:[1,0,0] neg_hi:[1,0,0]
	v_pk_mul_f16 v25, v8, s2 op_sel_hi:[1,0]
	v_pk_add_f16 v26, v7, v25 op_sel:[0,1] op_sel_hi:[1,0]
	v_pk_add_f16 v7, v7, v25 op_sel:[0,1] op_sel_hi:[1,0] neg_lo:[0,1] neg_hi:[0,1]
	v_alignbit_b32 v25, v7, v26, 16
	v_alignbit_b32 v7, v26, v7, 16
	v_pk_mul_f16 v8, v8, s3 op_sel_hi:[1,0]
	v_pk_add_f16 v25, v8, v25 op_sel:[1,0] op_sel_hi:[0,1]
	v_pk_add_f16 v7, v7, v8 op_sel:[0,1] op_sel_hi:[1,0] neg_lo:[0,1] neg_hi:[0,1]
	v_pk_fma_f16 v8, v0, s6, v25 op_sel_hi:[1,0,1]
	v_pk_fma_f16 v25, v0, s6, v7 op_sel_hi:[1,0,1]
	v_add_f16_e32 v0, v33, v23
	v_add_f16_sdwa v0, v0, v33 dst_sel:DWORD dst_unused:UNUSED_PAD src0_sel:DWORD src1_sel:WORD_1
	v_add_f16_sdwa v0, v0, v34 dst_sel:DWORD dst_unused:UNUSED_PAD src0_sel:DWORD src1_sel:WORD_1
	s_mov_b32 s8, 0x34f23a79
	v_add_f16_e32 v7, v0, v34
	s_mov_b32 s9, 0x3b9c38b4
	v_pk_mul_f16 v0, v45, s8
	v_pk_fma_f16 v0, v48, s9, v0
	v_pack_b32_f16 v23, v7, v8
	v_pack_b32_f16 v26, v24, v0
	v_pk_add_f16 v40, v23, v26 neg_lo:[0,1] neg_hi:[0,1]
	v_pk_mul_f16 v23, v44, s8
	v_pk_fma_f16 v23, v47, s9, v23 neg_lo:[0,0,1] neg_hi:[0,0,1]
	s_mov_b32 s8, 0x7060302
	v_pk_add_f16 v38, v8, v0
	v_perm_b32 v8, v25, v8, s8
	v_perm_b32 v0, v23, v0, s8
	v_pk_add_f16 v41, v8, v0 neg_lo:[0,1] neg_hi:[0,1]
	v_pk_add_f16 v0, v25, v23
	v_alignbit_b32 v39, v0, v0, 16
	v_and_b32_e32 v0, 1, v11
	v_mov_b32_e32 v8, 0x780
	v_cmp_eq_u32_e32 vcc, 1, v0
	v_cndmask_b32_e32 v0, 0, v8, vcc
	v_mul_u32_u24_e32 v8, 10, v3
	v_lshl_add_u32 v26, v8, 1, 0
	v_add_f16_e32 v24, v7, v24
	v_sub_f16_e32 v7, v16, v12
	v_sub_f16_e32 v8, v10, v18
	v_add_f16_e32 v8, v7, v8
	v_add_f16_e32 v7, v12, v18
	v_fma_f16 v11, v7, -0.5, v4
	v_sub_f16_e32 v27, v19, v22
	s_mov_b32 s8, 0xbb9c
	v_fma_f16 v7, v27, s2, v11
	v_sub_f16_e32 v35, v20, v21
	v_fma_f16 v11, v27, s8, v11
	s_mov_b32 s9, 0xb8b4
	v_fma_f16 v7, v35, s3, v7
	v_fma_f16 v11, v35, s9, v11
	;; [unrolled: 1-line block ×4, first 2 shown]
	v_sub_f16_e32 v8, v12, v16
	v_sub_f16_e32 v11, v18, v10
	v_add_f16_e32 v8, v8, v11
	v_add_f16_e32 v11, v16, v10
	v_lshl_add_u32 v51, v0, 1, v26
	v_fma_f16 v11, v11, -0.5, v4
	ds_write_b128 v51, v[38:41] offset:2
	v_fma_f16 v38, v35, s8, v11
	v_fma_f16 v11, v35, s2, v11
	v_fma_f16 v35, v27, s3, v38
	v_fma_f16 v11, v27, s9, v11
	v_fma_f16 v27, v8, s6, v35
	v_fma_f16 v35, v8, s6, v11
	v_pk_add_f16 v8, v17, v14 neg_lo:[0,1] neg_hi:[0,1]
	v_pk_add_f16 v11, v15, v13 neg_lo:[0,1] neg_hi:[0,1]
	v_pk_add_f16 v8, v8, v11
	v_add_f16_e32 v11, v14, v13
	v_pk_add_f16 v38, v17, v15 neg_lo:[0,1] neg_hi:[0,1]
	v_fma_f16 v11, v11, -0.5, v9
	v_lshrrev_b32_e32 v39, 16, v38
	v_fma_f16 v40, v39, s2, v11
	v_fma_f16 v11, v39, s8, v11
	v_pk_add_f16 v39, v14, v13 neg_lo:[0,1] neg_hi:[0,1]
	v_bfi_b32 v8, s7, v8, v39
	s_mov_b32 s7, 0x38b434f2
	v_pk_mul_f16 v8, v8, s7
	v_add_f16_sdwa v40, v8, v40 dst_sel:DWORD dst_unused:UNUSED_PAD src0_sel:WORD_1 src1_sel:DWORD
	v_sub_f16_sdwa v11, v11, v8 dst_sel:DWORD dst_unused:UNUSED_PAD src0_sel:DWORD src1_sel:WORD_1
	v_add_f16_e32 v55, v8, v40
	v_add_f16_e32 v52, v8, v11
	v_sub_f16_sdwa v8, v17, v14 dst_sel:DWORD dst_unused:UNUSED_PAD src0_sel:WORD_1 src1_sel:WORD_1
	v_sub_f16_sdwa v11, v15, v13 dst_sel:DWORD dst_unused:UNUSED_PAD src0_sel:WORD_1 src1_sel:WORD_1
	v_add_f16_e32 v8, v8, v11
	v_lshrrev_b32_e32 v58, 16, v9
	v_add_f16_sdwa v11, v14, v13 dst_sel:DWORD dst_unused:UNUSED_PAD src0_sel:WORD_1 src1_sel:WORD_1
	v_fma_f16 v11, v11, -0.5, v58
	v_fma_f16 v40, v38, s8, v11
	v_fma_f16 v11, v38, s2, v11
	;; [unrolled: 1-line block ×6, first 2 shown]
	v_pk_add_f16 v8, v14, v17 neg_lo:[0,1] neg_hi:[0,1]
	v_pk_add_f16 v11, v13, v15 neg_lo:[0,1] neg_hi:[0,1]
	v_pk_add_f16 v8, v8, v11
	v_pk_add_f16 v11, v17, v15
	v_pk_fma_f16 v11, v11, 0.5, v9 op_sel_hi:[1,0,1] neg_lo:[1,0,0] neg_hi:[1,0,0]
	v_pk_mul_f16 v39, v39, s2 op_sel_hi:[1,0]
	v_pk_add_f16 v40, v11, v39 op_sel:[0,1] op_sel_hi:[1,0]
	v_pk_add_f16 v11, v11, v39 op_sel:[0,1] op_sel_hi:[1,0] neg_lo:[0,1] neg_hi:[0,1]
	v_pk_mul_f16 v38, v38, s3 op_sel_hi:[1,0]
	v_pk_add_f16 v39, v40, v38 op_sel:[0,1] op_sel_hi:[1,0] neg_lo:[0,1] neg_hi:[0,1]
	v_pk_add_f16 v11, v38, v11 op_sel:[1,0] op_sel_hi:[0,1]
	v_pk_fma_f16 v54, v8, s6, v39 op_sel_hi:[1,0,1]
	v_pk_fma_f16 v56, v8, s6, v11 op_sel_hi:[1,0,1]
	v_sub_f16_e32 v23, v25, v23
	v_add_f16_e32 v4, v4, v16
	v_add_f16_e32 v9, v9, v17
	v_mul_f16_e32 v8, 0x34f2, v54
	v_lshrrev_b32_e32 v11, 16, v56
	ds_write_b16 v51, v23 offset:18
	v_add_f16_e32 v4, v4, v12
	v_add_f16_e32 v9, v9, v14
	v_mul_f16_e32 v23, 0x3a79, v55
	v_fma_f16 v38, v11, s2, -v8
	v_mul_f16_sdwa v8, v54, s2 dst_sel:DWORD dst_unused:UNUSED_PAD src0_sel:WORD_1 src1_sel:DWORD
	v_add_f16_e32 v4, v4, v18
	v_add_f16_e32 v9, v9, v13
	v_fma_f16 v39, v57, s3, v23
	v_mul_f16_e32 v23, 0x3a79, v52
	v_fma_f16 v11, v56, s6, v8
	v_add_f16_e32 v4, v10, v4
	v_add_f16_e32 v9, v15, v9
	v_fma_f16 v40, v53, s3, -v23
	s_movk_i32 s2, 0x48
	v_add_f16_e32 v8, v27, v11
	v_sub_f16_e32 v11, v27, v11
	ds_write_b16 v51, v24
	v_cmp_gt_u32_e64 s[2:3], s2, v3
	v_add_f16_e32 v23, v28, v40
	v_add_f16_e32 v27, v35, v38
	v_sub_f16_e32 v24, v4, v9
	v_sub_f16_e32 v25, v7, v39
	s_and_saveexec_b64 s[6:7], s[2:3]
	s_cbranch_execz .LBB0_17
; %bb.16:
	v_add_f16_e32 v7, v7, v39
	v_add_f16_e32 v4, v9, v4
	s_mov_b32 s8, 0x5040100
	v_sub_f16_e32 v35, v35, v38
	v_add_u32_e32 v9, 0x960, v51
	v_perm_b32 v38, v27, v8, s8
	v_pack_b32_f16 v4, v4, v7
	v_sub_f16_e32 v28, v28, v40
	ds_write2_b32 v9, v4, v38 offset1:1
	v_add_u32_e32 v4, 0x968, v51
	v_perm_b32 v7, v11, v25, s8
	v_perm_b32 v9, v24, v23, s8
	ds_write2_b32 v4, v9, v7 offset1:1
	v_pack_b32_f16 v4, v35, v28
	ds_write_b32 v51, v4 offset:2416
.LBB0_17:
	s_or_b64 exec, exec, s[6:7]
	v_lshlrev_b32_e32 v4, 1, v0
	v_lshlrev_b32_e32 v7, 1, v3
	v_mul_i32_i24_e32 v9, 0xffffffee, v3
	v_add3_u32 v0, 0, v4, v7
	v_add3_u32 v9, v26, v9, v4
	s_waitcnt lgkmcnt(0)
	s_barrier
	ds_read_u16 v28, v0
	ds_read_u16 v43, v9 offset:2560
	ds_read_u16 v39, v9 offset:2160
	;; [unrolled: 1-line block ×11, first 2 shown]
	s_movk_i32 s6, 0x50
	v_cmp_gt_u32_e32 vcc, s6, v3
	s_and_saveexec_b64 s[6:7], vcc
	s_cbranch_execz .LBB0_19
; %bb.18:
	ds_read_u16 v8, v9 offset:480
	ds_read_u16 v27, v9 offset:1120
	;; [unrolled: 1-line block ×6, first 2 shown]
.LBB0_19:
	s_or_b64 exec, exec, s[6:7]
	v_add_f16_e32 v30, v36, v30
	v_add_f16_e32 v59, v31, v29
	v_add_f16_sdwa v30, v30, v36 dst_sel:DWORD dst_unused:UNUSED_PAD src0_sel:DWORD src1_sel:WORD_1
	v_add_f16_sdwa v59, v59, v31 dst_sel:DWORD dst_unused:UNUSED_PAD src0_sel:DWORD src1_sel:WORD_1
	;; [unrolled: 1-line block ×4, first 2 shown]
	v_add_f16_e32 v36, v30, v37
	v_pk_add_f16 v30, v33, v34 neg_lo:[0,1] neg_hi:[0,1]
	v_pk_add_f16 v33, v31, v32
	v_add_f16_e32 v59, v59, v32
	v_pk_fma_f16 v29, v33, -0.5, v29 op_sel_hi:[1,0,0]
	v_pk_add_f16 v31, v31, v31 op_sel:[0,1] op_sel_hi:[1,0] neg_lo:[0,1] neg_hi:[0,1]
	v_pk_add_f16 v32, v32, v32 op_sel:[0,1] op_sel_hi:[1,0] neg_lo:[0,1] neg_hi:[0,1]
	s_movk_i32 s7, 0x3b9c
	s_movk_i32 s6, 0x38b4
	v_pk_add_f16 v31, v31, v32
	v_pk_fma_f16 v32, v30, s7, v29 op_sel:[0,0,1] op_sel_hi:[1,0,0] neg_lo:[1,0,0] neg_hi:[1,0,0]
	v_pk_fma_f16 v29, v30, s7, v29 op_sel:[0,0,1] op_sel_hi:[1,0,0]
	s_mov_b32 s9, 0xffff
	v_pk_mul_f16 v33, v30, s6 op_sel_hi:[1,0]
	v_bfi_b32 v30, s9, v32, v29
	v_pk_add_f16 v30, v30, v33 op_sel:[0,1] op_sel_hi:[1,0] neg_lo:[0,1] neg_hi:[0,1]
	s_movk_i32 s14, 0x34f2
	s_mov_b32 s8, 0xbb9cb8b4
	v_bfi_b32 v29, s9, v29, v32
	v_pk_fma_f16 v34, v31, s14, v30 op_sel_hi:[1,0,1]
	v_pk_mul_f16 v30, v45, s8
	s_mov_b32 s15, 0x34f23a79
	v_pk_add_f16 v29, v33, v29 op_sel:[1,0] op_sel_hi:[0,1]
	v_pk_fma_f16 v45, v48, s15, v30
	v_pk_fma_f16 v29, v31, s14, v29 op_sel_hi:[1,0,1]
	v_pk_mul_f16 v31, v47, s15
	v_pk_fma_f16 v31, v44, s8, v31 neg_lo:[0,0,1] neg_hi:[0,0,1]
	v_pack_b32_f16 v32, v59, v34
	v_pack_b32_f16 v33, v36, v45
	s_mov_b32 s8, 0x7060302
	v_pk_add_f16 v30, v34, v45
	v_pk_add_f16 v32, v32, v33 neg_lo:[0,1] neg_hi:[0,1]
	v_perm_b32 v33, v29, v34, s8
	v_perm_b32 v34, v31, v45, s8
	v_add_f16_e32 v37, v59, v36
	v_pk_add_f16 v44, v29, v31
	v_pk_add_f16 v33, v33, v34 neg_lo:[0,1] neg_hi:[0,1]
	v_sub_f16_e32 v34, v29, v31
	v_lshrrev_b32_e32 v31, 16, v16
	v_add_f16_e32 v36, v20, v21
	v_add_f16_e32 v29, v31, v19
	v_fma_f16 v31, v36, -0.5, v31
	v_sub_f16_e32 v36, v12, v18
	v_sub_f16_e32 v12, v19, v20
	;; [unrolled: 1-line block ×3, first 2 shown]
	v_add_f16_e32 v18, v12, v18
	v_add_f16_e32 v12, v19, v22
	v_mul_f16_e32 v45, 0.5, v12
	v_sub_f16_e32 v12, v20, v19
	v_sub_f16_e32 v19, v21, v22
	v_add_f16_e32 v12, v12, v19
	v_mul_f16_e32 v19, 0x34f2, v12
	v_add_f16_sdwa v12, v58, v17 dst_sel:DWORD dst_unused:UNUSED_PAD src0_sel:DWORD src1_sel:WORD_1
	v_add_f16_sdwa v12, v12, v14 dst_sel:DWORD dst_unused:UNUSED_PAD src0_sel:DWORD src1_sel:WORD_1
	;; [unrolled: 1-line block ×3, first 2 shown]
	v_mul_f16_e32 v13, 0xb8b4, v55
	s_movk_i32 s8, 0x3a79
	v_fma_f16 v13, v57, s8, v13
	s_mov_b32 s8, 0x5040100
	v_perm_b32 v10, v45, v10, s8
	v_pk_add_f16 v14, v16, v10 neg_lo:[0,1] neg_hi:[0,1]
	s_mov_b32 s16, 0xbb9c
	v_add_f16_sdwa v12, v15, v12 dst_sel:DWORD dst_unused:UNUSED_PAD src0_sel:WORD_1 src1_sel:DWORD
	s_mov_b32 s15, 0xb8b4
	v_fma_f16 v10, v14, s16, v31
	v_fma_f16 v15, v14, s7, v31
	v_add_f16_e32 v29, v29, v20
	v_mul_f16_e32 v47, 0x3b9c, v36
	v_fma_f16 v10, v36, s15, v10
	v_fma_f16 v15, v36, s6, v15
	v_lshrrev_b32_e32 v20, 16, v14
	v_fma_f16 v10, v18, s14, v10
	v_fma_f16 v18, v18, s14, v15
	v_pack_b32_f16 v15, s6, v47
	v_pk_mul_f16 v17, v14, s6
	v_fma_f16 v20, v36, s16, v20
	v_add_f16_e32 v29, v29, v21
	v_pk_add_f16 v16, v14, v15
	v_lshlrev_b32_e32 v21, 16, v17
	v_pack_b32_f16 v17, v20, v17
	v_pk_add_f16 v16, v16, v21 neg_lo:[0,1] neg_hi:[0,1]
	v_pk_fma_f16 v14, v14, v15, v17
	v_bfi_b32 v14, s9, v14, v16
	s_mov_b32 s7, 0x34f23b9c
	v_pk_add_f16 v19, v19, v14 op_sel_hi:[0,1]
	s_mov_b32 s6, 0x34f2bb9c
	v_pk_mul_f16 v14, v56, s7
	v_pk_fma_f16 v20, v54, s6, v14 op_sel:[0,0,1] op_sel_hi:[1,1,0] neg_lo:[0,0,1] neg_hi:[0,0,1]
	v_mul_f16_e32 v15, 0x3a79, v53
	v_add_f16_e32 v29, v22, v29
	v_fma_f16 v22, v52, s15, -v15
	v_bfi_b32 v17, s9, v10, v19
	v_bfi_b32 v21, s9, v13, v20
	v_pk_add_f16 v14, v19, v20
	v_add_f16_e32 v15, v18, v22
	v_sub_f16_e32 v16, v29, v12
	v_pk_add_f16 v17, v17, v21 neg_lo:[0,1] neg_hi:[0,1]
	v_add_u32_e32 v21, 0x78, v3
	v_alignbit_b32 v31, v44, v44, 16
	s_waitcnt lgkmcnt(0)
	s_barrier
	ds_write_b16 v51, v37
	ds_write_b128 v51, v[30:33] offset:2
	ds_write_b16 v51, v34 offset:18
	s_and_saveexec_b64 s[6:7], s[2:3]
	s_cbranch_execz .LBB0_21
; %bb.20:
	v_add_f16_e32 v10, v10, v13
	v_perm_b32 v13, v18, v19, s8
	v_perm_b32 v18, v22, v20, s8
	v_pk_add_f16 v13, v13, v18 neg_lo:[0,1] neg_hi:[0,1]
	v_mul_u32_u24_e32 v18, 10, v21
	v_add_f16_e32 v12, v12, v29
	v_lshlrev_b32_e32 v18, 1, v18
	v_add3_u32 v18, 0, v18, v4
	v_pack_b32_f16 v10, v12, v10
	v_alignbit_b32 v12, v14, v14, 16
	ds_write2_b32 v18, v10, v12 offset1:1
	v_perm_b32 v10, v16, v15, s8
	ds_write2_b32 v18, v10, v17 offset0:2 offset1:3
	ds_write_b32 v18, v13 offset:16
.LBB0_21:
	s_or_b64 exec, exec, s[6:7]
	s_waitcnt lgkmcnt(0)
	s_barrier
	ds_read_u16 v13, v0
	ds_read_u16 v33, v9 offset:2560
	ds_read_u16 v37, v9 offset:2160
	;; [unrolled: 1-line block ×11, first 2 shown]
	v_lshrrev_b32_e32 v12, 16, v14
	v_lshrrev_b32_e32 v19, 16, v17
	s_and_saveexec_b64 s[2:3], vcc
	s_cbranch_execz .LBB0_23
; %bb.22:
	ds_read_u16 v12, v9 offset:480
	ds_read_u16 v14, v9 offset:1120
	;; [unrolled: 1-line block ×6, first 2 shown]
.LBB0_23:
	s_or_b64 exec, exec, s[2:3]
	s_movk_i32 s2, 0xcd
	v_mul_lo_u16_sdwa v30, v3, s2 dst_sel:DWORD dst_unused:UNUSED_PAD src0_sel:BYTE_0 src1_sel:DWORD
	v_lshrrev_b16_e32 v45, 11, v30
	v_mul_lo_u16_sdwa v47, v21, s2 dst_sel:DWORD dst_unused:UNUSED_PAD src0_sel:BYTE_0 src1_sel:DWORD
	v_mul_lo_u16_e32 v30, 10, v45
	v_lshrrev_b16_e32 v64, 11, v47
	v_sub_u16_e32 v63, v3, v30
	v_mov_b32_e32 v30, 5
	v_mul_lo_u16_e32 v47, 10, v64
	v_mul_u32_u24_sdwa v34, v63, v30 dst_sel:DWORD dst_unused:UNUSED_PAD src0_sel:BYTE_0 src1_sel:DWORD
	v_sub_u16_e32 v65, v21, v47
	v_lshlrev_b32_e32 v34, 2, v34
	v_mul_u32_u24_sdwa v21, v65, v30 dst_sel:DWORD dst_unused:UNUSED_PAD src0_sel:BYTE_0 src1_sel:DWORD
	v_add_u32_e32 v30, 0xf0, v3
	s_mov_b32 s2, 0xcccd
	global_load_dwordx4 v[51:54], v34, s[12:13]
	global_load_dword v48, v34, s[12:13] offset:16
	v_mul_u32_u24_sdwa v34, v30, s2 dst_sel:DWORD dst_unused:UNUSED_PAD src0_sel:WORD_0 src1_sel:DWORD
	v_lshrrev_b32_e32 v66, 19, v34
	v_mul_lo_u16_e32 v34, 10, v66
	v_lshlrev_b32_e32 v21, 2, v21
	v_sub_u16_e32 v67, v30, v34
	global_load_dwordx4 v[55:58], v21, s[12:13]
	global_load_dword v47, v21, s[12:13] offset:16
	v_mul_u32_u24_e32 v21, 5, v67
	v_lshlrev_b32_e32 v21, 2, v21
	global_load_dwordx4 v[59:62], v21, s[12:13]
	global_load_dword v68, v21, s[12:13] offset:16
	s_movk_i32 s7, 0x3aee
	s_mov_b32 s6, 0xbaee
	s_movk_i32 s2, 0x78
	v_mad_u32_u24 v45, v45, s2, 0
	s_waitcnt vmcnt(0) lgkmcnt(0)
	s_barrier
	v_mul_f16_sdwa v21, v18, v51 dst_sel:DWORD dst_unused:UNUSED_PAD src0_sel:DWORD src1_sel:WORD_1
	v_mul_f16_sdwa v30, v50, v51 dst_sel:DWORD dst_unused:UNUSED_PAD src0_sel:DWORD src1_sel:WORD_1
	;; [unrolled: 1-line block ×3, first 2 shown]
	v_fma_f16 v50, v50, v51, -v21
	v_fma_f16 v18, v18, v51, v30
	v_mul_f16_sdwa v30, v46, v53 dst_sel:DWORD dst_unused:UNUSED_PAD src0_sel:DWORD src1_sel:WORD_1
	v_fma_f16 v21, v49, v52, -v34
	v_mul_f16_sdwa v34, v33, v54 dst_sel:DWORD dst_unused:UNUSED_PAD src0_sel:DWORD src1_sel:WORD_1
	v_mul_f16_sdwa v69, v49, v52 dst_sel:DWORD dst_unused:UNUSED_PAD src0_sel:DWORD src1_sel:WORD_1
	;; [unrolled: 1-line block ×4, first 2 shown]
	v_fma_f16 v29, v29, v53, v30
	v_fma_f16 v30, v43, v54, -v34
	v_mul_f16_sdwa v43, v42, v55 dst_sel:DWORD dst_unused:UNUSED_PAD src0_sel:DWORD src1_sel:WORD_1
	v_fma_f16 v22, v22, v52, v69
	v_fma_f16 v51, v46, v53, -v70
	v_mul_f16_sdwa v46, v32, v48 dst_sel:DWORD dst_unused:UNUSED_PAD src0_sel:DWORD src1_sel:WORD_1
	v_mul_f16_sdwa v52, v38, v48 dst_sel:DWORD dst_unused:UNUSED_PAD src0_sel:DWORD src1_sel:WORD_1
	;; [unrolled: 1-line block ×3, first 2 shown]
	v_fma_f16 v33, v33, v54, v49
	v_mul_f16_sdwa v49, v36, v56 dst_sel:DWORD dst_unused:UNUSED_PAD src0_sel:DWORD src1_sel:WORD_1
	v_mul_f16_sdwa v53, v41, v56 dst_sel:DWORD dst_unused:UNUSED_PAD src0_sel:DWORD src1_sel:WORD_1
	;; [unrolled: 1-line block ×4, first 2 shown]
	v_fma_f16 v31, v31, v55, v43
	v_mul_f16_sdwa v43, v40, v58 dst_sel:DWORD dst_unused:UNUSED_PAD src0_sel:DWORD src1_sel:WORD_1
	v_mul_f16_sdwa v69, v39, v57 dst_sel:DWORD dst_unused:UNUSED_PAD src0_sel:DWORD src1_sel:WORD_1
	v_fma_f16 v42, v42, v55, -v34
	v_fma_f16 v34, v41, v56, -v49
	v_mul_f16_sdwa v41, v20, v47 dst_sel:DWORD dst_unused:UNUSED_PAD src0_sel:DWORD src1_sel:WORD_1
	v_fma_f16 v36, v36, v56, v53
	v_mul_f16_sdwa v49, v35, v47 dst_sel:DWORD dst_unused:UNUSED_PAD src0_sel:DWORD src1_sel:WORD_1
	v_fma_f16 v53, v39, v57, -v54
	v_fma_f16 v39, v40, v58, -v70
	v_fma_f16 v40, v44, v58, v43
	v_mul_f16_sdwa v44, v16, v61 dst_sel:DWORD dst_unused:UNUSED_PAD src0_sel:DWORD src1_sel:WORD_1
	v_fma_f16 v38, v38, v48, -v46
	v_mul_f16_sdwa v70, v19, v68 dst_sel:DWORD dst_unused:UNUSED_PAD src0_sel:DWORD src1_sel:WORD_1
	v_fma_f16 v32, v32, v48, v52
	v_mul_f16_sdwa v48, v11, v68 dst_sel:DWORD dst_unused:UNUSED_PAD src0_sel:DWORD src1_sel:WORD_1
	v_fma_f16 v37, v37, v57, v69
	v_mul_f16_sdwa v56, v15, v60 dst_sel:DWORD dst_unused:UNUSED_PAD src0_sel:DWORD src1_sel:WORD_1
	v_mul_f16_sdwa v43, v23, v60 dst_sel:DWORD dst_unused:UNUSED_PAD src0_sel:DWORD src1_sel:WORD_1
	;; [unrolled: 1-line block ×3, first 2 shown]
	v_fma_f16 v41, v35, v47, -v41
	v_fma_f16 v35, v20, v47, v49
	v_fma_f16 v46, v24, v61, -v44
	v_fma_f16 v47, v11, v68, -v70
	v_fma_f16 v11, v19, v68, v48
	v_add_f16_e32 v19, v28, v21
	v_add_f16_e32 v24, v21, v30
	v_fma_f16 v20, v23, v60, -v56
	v_fma_f16 v23, v15, v60, v43
	v_add_f16_e32 v43, v19, v30
	v_fma_f16 v19, v24, -0.5, v28
	v_sub_f16_e32 v24, v22, v33
	v_fma_f16 v44, v24, s7, v19
	v_fma_f16 v48, v24, s6, v19
	v_add_f16_e32 v19, v50, v51
	v_mul_f16_sdwa v58, v17, v62 dst_sel:DWORD dst_unused:UNUSED_PAD src0_sel:DWORD src1_sel:WORD_1
	v_add_f16_e32 v49, v19, v38
	v_add_f16_e32 v19, v51, v38
	v_mul_f16_sdwa v69, v25, v62 dst_sel:DWORD dst_unused:UNUSED_PAD src0_sel:DWORD src1_sel:WORD_1
	v_fma_f16 v15, v16, v61, v57
	v_fma_f16 v16, v25, v62, -v58
	v_fma_f16 v19, v19, -0.5, v50
	v_sub_f16_e32 v25, v29, v32
	v_fma_f16 v24, v25, s7, v19
	v_fma_f16 v19, v25, s6, v19
	v_add_f16_e32 v25, v29, v32
	v_fma_f16 v25, v25, -0.5, v18
	v_sub_f16_e32 v38, v51, v38
	v_fma_f16 v28, v38, s6, v25
	v_fma_f16 v25, v38, s7, v25
	v_mul_f16_e32 v38, 0x3aee, v28
	v_mul_f16_sdwa v54, v14, v59 dst_sel:DWORD dst_unused:UNUSED_PAD src0_sel:DWORD src1_sel:WORD_1
	v_add_f16_e32 v52, v43, v49
	v_fma_f16 v38, v24, 0.5, v38
	v_mul_f16_e32 v50, -0.5, v19
	v_sub_f16_e32 v56, v43, v49
	v_add_f16_e32 v43, v34, v39
	v_mul_f16_sdwa v55, v27, v59 dst_sel:DWORD dst_unused:UNUSED_PAD src0_sel:DWORD src1_sel:WORD_1
	v_fma_f16 v27, v27, v59, -v54
	v_add_f16_e32 v54, v44, v38
	v_fma_f16 v50, v25, s7, v50
	v_sub_f16_e32 v44, v44, v38
	v_add_f16_e32 v38, v26, v34
	v_fma_f16 v26, v43, -0.5, v26
	v_sub_f16_e32 v43, v36, v40
	v_fma_f16 v14, v14, v59, v55
	v_add_f16_e32 v55, v48, v50
	v_sub_f16_e32 v57, v48, v50
	v_fma_f16 v50, v43, s7, v26
	v_fma_f16 v43, v43, s6, v26
	v_add_f16_e32 v26, v42, v53
	v_add_f16_e32 v58, v26, v41
	;; [unrolled: 1-line block ×3, first 2 shown]
	v_fma_f16 v26, v26, -0.5, v42
	v_sub_f16_e32 v42, v37, v35
	v_fma_f16 v48, v42, s7, v26
	v_fma_f16 v26, v42, s6, v26
	v_add_f16_e32 v42, v37, v35
	v_fma_f16 v42, v42, -0.5, v31
	v_sub_f16_e32 v41, v53, v41
	v_add_f16_e32 v38, v38, v39
	v_fma_f16 v51, v41, s6, v42
	v_fma_f16 v49, v41, s7, v42
	v_mul_f16_e32 v42, -0.5, v26
	v_add_f16_e32 v53, v38, v58
	v_mul_f16_e32 v41, 0x3aee, v51
	v_fma_f16 v42, v49, s7, v42
	v_sub_f16_e32 v58, v38, v58
	v_add_f16_e32 v38, v46, v47
	v_fma_f16 v17, v17, v62, v69
	v_fma_f16 v41, v48, 0.5, v41
	v_add_f16_e32 v60, v43, v42
	v_sub_f16_e32 v62, v43, v42
	v_fma_f16 v38, v38, -0.5, v27
	v_sub_f16_e32 v42, v15, v11
	v_add_f16_e32 v59, v50, v41
	v_sub_f16_e32 v61, v50, v41
	v_fma_f16 v41, v42, s7, v38
	v_fma_f16 v38, v42, s6, v38
	v_add_f16_e32 v42, v15, v11
	v_fma_f16 v42, v42, -0.5, v14
	v_sub_f16_e32 v50, v46, v47
	v_mov_b32_e32 v68, 1
	v_fma_f16 v43, v50, s6, v42
	v_fma_f16 v42, v50, s7, v42
	v_lshlrev_b32_sdwa v50, v68, v63 dst_sel:DWORD dst_unused:UNUSED_PAD src0_sel:DWORD src1_sel:BYTE_0
	v_add3_u32 v50, v45, v50, v4
	ds_write_b16 v50, v52
	ds_write_b16 v50, v54 offset:20
	ds_write_b16 v50, v55 offset:40
	;; [unrolled: 1-line block ×5, first 2 shown]
	v_mad_u32_u24 v44, v64, s2, 0
	v_lshlrev_b32_sdwa v45, v68, v65 dst_sel:DWORD dst_unused:UNUSED_PAD src0_sel:DWORD src1_sel:BYTE_0
	v_add3_u32 v52, v44, v45, v4
	v_mul_lo_u16_e32 v44, 60, v66
	v_lshl_add_u32 v45, v67, 1, 0
	ds_write_b16 v52, v53
	ds_write_b16 v52, v59 offset:20
	ds_write_b16 v52, v60 offset:40
	;; [unrolled: 1-line block ×5, first 2 shown]
	s_and_saveexec_b64 s[2:3], vcc
	s_cbranch_execz .LBB0_25
; %bb.24:
	v_add_f16_e32 v53, v20, v16
	v_fma_f16 v53, v53, -0.5, v8
	v_add_f16_e32 v8, v8, v20
	v_add_f16_e32 v27, v27, v46
	v_sub_f16_e32 v54, v23, v17
	v_add_f16_e32 v8, v8, v16
	v_add_f16_e32 v27, v27, v47
	v_fma_f16 v55, v54, s6, v53
	v_mul_f16_e32 v56, -0.5, v38
	v_fma_f16 v53, v54, s7, v53
	v_mul_f16_e32 v54, 0x3aee, v43
	v_sub_f16_e32 v46, v8, v27
	v_add_f16_e32 v8, v8, v27
	v_lshlrev_b32_e32 v27, 1, v44
	v_fma_f16 v56, v42, s7, v56
	v_fma_f16 v54, v41, 0.5, v54
	v_add3_u32 v27, v45, v27, v4
	v_sub_f16_e32 v57, v55, v56
	v_sub_f16_e32 v58, v53, v54
	v_add_f16_e32 v47, v55, v56
	v_add_f16_e32 v53, v53, v54
	ds_write_b16 v27, v8
	ds_write_b16 v27, v53 offset:20
	ds_write_b16 v27, v47 offset:40
	;; [unrolled: 1-line block ×5, first 2 shown]
.LBB0_25:
	s_or_b64 exec, exec, s[2:3]
	v_add_f16_e32 v8, v13, v22
	v_add_f16_e32 v22, v22, v33
	v_fma_f16 v13, v22, -0.5, v13
	v_sub_f16_e32 v21, v21, v30
	v_add_f16_e32 v18, v18, v29
	v_add_f16_e32 v8, v8, v33
	v_fma_f16 v22, v21, s6, v13
	v_fma_f16 v13, v21, s7, v13
	v_add_f16_e32 v18, v18, v32
	v_mul_f16_e32 v21, 0xbaee, v24
	v_mul_f16_e32 v24, -0.5, v25
	v_add_f16_e32 v46, v8, v18
	v_fma_f16 v21, v28, 0.5, v21
	v_fma_f16 v19, v19, s6, v24
	v_sub_f16_e32 v8, v8, v18
	v_add_f16_e32 v18, v36, v40
	v_add_f16_e32 v47, v22, v21
	;; [unrolled: 1-line block ×3, first 2 shown]
	v_sub_f16_e32 v54, v22, v21
	v_sub_f16_e32 v55, v13, v19
	v_add_f16_e32 v13, v10, v36
	v_fma_f16 v10, v18, -0.5, v10
	v_sub_f16_e32 v18, v34, v39
	v_mul_f16_e32 v22, -0.5, v49
	v_fma_f16 v19, v18, s6, v10
	v_fma_f16 v10, v18, s7, v10
	v_add_f16_e32 v18, v31, v37
	v_mul_f16_e32 v21, 0xbaee, v48
	v_fma_f16 v22, v26, s6, v22
	v_add_f16_e32 v13, v13, v40
	v_add_f16_e32 v18, v18, v35
	v_fma_f16 v21, v51, 0.5, v21
	v_add_f16_e32 v37, v10, v22
	v_sub_f16_e32 v48, v10, v22
	v_add3_u32 v10, 0, v7, v4
	v_add_f16_e32 v35, v13, v18
	v_add_f16_e32 v36, v19, v21
	v_sub_f16_e32 v39, v13, v18
	v_sub_f16_e32 v40, v19, v21
	s_waitcnt lgkmcnt(0)
	s_barrier
	ds_read_u16 v30, v10 offset:720
	ds_read_u16 v29, v10 offset:960
	;; [unrolled: 1-line block ×3, first 2 shown]
	ds_read_u16 v13, v0
	ds_read_u16 v34, v9 offset:240
	ds_read_u16 v24, v9 offset:1920
	;; [unrolled: 1-line block ×12, first 2 shown]
	s_waitcnt lgkmcnt(0)
	s_barrier
	ds_write_b16 v50, v46
	ds_write_b16 v50, v47 offset:20
	ds_write_b16 v50, v53 offset:40
	;; [unrolled: 1-line block ×5, first 2 shown]
	ds_write_b16 v52, v35
	ds_write_b16 v52, v36 offset:20
	ds_write_b16 v52, v37 offset:40
	ds_write_b16 v52, v39 offset:60
	ds_write_b16 v52, v40 offset:80
	ds_write_b16 v52, v48 offset:100
	s_and_saveexec_b64 s[2:3], vcc
	s_cbranch_execz .LBB0_27
; %bb.26:
	v_add_f16_e32 v8, v23, v17
	v_add_f16_e32 v7, v12, v23
	v_fma_f16 v8, v8, -0.5, v12
	v_sub_f16_e32 v12, v20, v16
	v_fma_f16 v16, v12, s6, v8
	v_fma_f16 v8, v12, s7, v8
	v_add_f16_e32 v12, v14, v15
	v_mul_f16_e32 v14, 0xbaee, v41
	v_add_f16_e32 v7, v7, v17
	v_add_f16_e32 v11, v12, v11
	v_fma_f16 v14, v43, 0.5, v14
	v_add_f16_e32 v12, v7, v11
	v_add_f16_e32 v15, v16, v14
	v_mul_f16_e32 v17, -0.5, v42
	v_sub_f16_e32 v7, v7, v11
	v_sub_f16_e32 v11, v16, v14
	v_lshlrev_b32_e32 v14, 1, v44
	v_fma_f16 v17, v38, s6, v17
	v_add3_u32 v14, v45, v14, v4
	v_add_f16_e32 v20, v8, v17
	v_sub_f16_e32 v8, v8, v17
	ds_write_b16 v14, v12
	ds_write_b16 v14, v15 offset:20
	ds_write_b16 v14, v20 offset:40
	;; [unrolled: 1-line block ×5, first 2 shown]
.LBB0_27:
	s_or_b64 exec, exec, s[2:3]
	v_subrev_u32_e32 v7, 60, v3
	v_cmp_gt_u32_e32 vcc, 60, v3
	v_cndmask_b32_e32 v20, v7, v3, vcc
	v_mul_i32_i24_e32 v7, 15, v20
	v_mov_b32_e32 v8, 0
	v_lshlrev_b64 v[11:12], 2, v[7:8]
	v_mov_b32_e32 v7, s13
	v_add_co_u32_e32 v11, vcc, s12, v11
	v_addc_co_u32_e32 v12, vcc, v7, v12, vcc
	s_waitcnt lgkmcnt(0)
	s_barrier
	global_load_dwordx4 v[14:17], v[11:12], off offset:200
	global_load_dwordx4 v[35:38], v[11:12], off offset:216
	;; [unrolled: 1-line block ×3, first 2 shown]
	global_load_dwordx3 v[43:45], v[11:12], off offset:248
	ds_read_u16 v7, v10 offset:960
	ds_read_u16 v11, v10 offset:1200
	ds_read_u16 v12, v0
	ds_read_u16 v23, v9 offset:240
	ds_read_u16 v46, v9 offset:1920
	;; [unrolled: 1-line block ×13, first 2 shown]
	s_mov_b32 s2, 0xb9a8
	s_movk_i32 s3, 0x39a8
	s_mov_b32 s6, 0xbb64
	s_mov_b32 s7, 0xb61f
	s_movk_i32 s8, 0x361f
	s_movk_i32 s9, 0x3b64
	v_cmp_lt_u32_e32 vcc, 59, v3
	s_waitcnt vmcnt(0) lgkmcnt(0)
	s_barrier
	v_mul_f16_sdwa v58, v23, v14 dst_sel:DWORD dst_unused:UNUSED_PAD src0_sel:DWORD src1_sel:WORD_1
	v_mul_f16_sdwa v59, v34, v14 dst_sel:DWORD dst_unused:UNUSED_PAD src0_sel:DWORD src1_sel:WORD_1
	;; [unrolled: 1-line block ×20, first 2 shown]
	v_fma_f16 v34, v34, v14, -v58
	v_fma_f16 v14, v23, v14, v59
	v_mul_f16_sdwa v59, v56, v44 dst_sel:DWORD dst_unused:UNUSED_PAD src0_sel:DWORD src1_sel:WORD_1
	v_mul_f16_sdwa v60, v48, v15 dst_sel:DWORD dst_unused:UNUSED_PAD src0_sel:DWORD src1_sel:WORD_1
	v_fma_f16 v29, v29, v17, -v64
	v_fma_f16 v7, v7, v17, v65
	v_fma_f16 v17, v27, v35, -v66
	v_fma_f16 v11, v11, v35, v67
	;; [unrolled: 2-line block ×9, first 2 shown]
	v_fma_f16 v41, v19, v44, -v59
	v_mul_f16_sdwa v19, v19, v44 dst_sel:DWORD dst_unused:UNUSED_PAD src0_sel:DWORD src1_sel:WORD_1
	v_mul_f16_sdwa v42, v57, v45 dst_sel:DWORD dst_unused:UNUSED_PAD src0_sel:DWORD src1_sel:WORD_1
	;; [unrolled: 1-line block ×6, first 2 shown]
	v_fma_f16 v33, v33, v15, -v60
	v_fma_f16 v19, v56, v44, v19
	v_fma_f16 v42, v18, v45, -v42
	v_mul_f16_sdwa v18, v18, v45 dst_sel:DWORD dst_unused:UNUSED_PAD src0_sel:DWORD src1_sel:WORD_1
	v_fma_f16 v15, v48, v15, v61
	v_fma_f16 v30, v30, v16, -v62
	v_fma_f16 v16, v47, v16, v63
	v_fma_f16 v23, v55, v43, v23
	;; [unrolled: 1-line block ×3, first 2 shown]
	v_sub_f16_e32 v24, v13, v24
	v_sub_f16_e32 v40, v7, v40
	;; [unrolled: 1-line block ×4, first 2 shown]
	v_mul_f16_sdwa v58, v55, v43 dst_sel:DWORD dst_unused:UNUSED_PAD src0_sel:DWORD src1_sel:WORD_1
	v_sub_f16_e32 v36, v12, v36
	v_sub_f16_e32 v22, v29, v22
	v_fma_f16 v7, v7, 2.0, -v40
	v_sub_f16_e32 v38, v15, v38
	v_sub_f16_e32 v41, v27, v41
	v_fma_f16 v32, v32, 2.0, -v19
	v_sub_f16_e32 v37, v14, v37
	v_sub_f16_e32 v23, v11, v23
	;; [unrolled: 1-line block ×6, first 2 shown]
	v_fma_f16 v21, v21, v43, -v58
	v_fma_f16 v13, v13, 2.0, -v24
	v_fma_f16 v12, v12, 2.0, -v36
	;; [unrolled: 1-line block ×6, first 2 shown]
	v_sub_f16_e32 v25, v34, v25
	v_fma_f16 v14, v14, 2.0, -v37
	v_fma_f16 v11, v11, 2.0, -v23
	v_sub_f16_e32 v26, v30, v26
	v_fma_f16 v16, v16, 2.0, -v39
	v_fma_f16 v35, v35, 2.0, -v18
	v_add_f16_e32 v22, v36, v22
	v_fma_f16 v24, v24, 2.0, -v40
	v_add_f16_e32 v41, v38, v41
	v_fma_f16 v28, v28, 2.0, -v19
	v_sub_f16_e32 v21, v17, v21
	v_sub_f16_e32 v42, v31, v42
	;; [unrolled: 1-line block ×3, first 2 shown]
	v_fma_f16 v36, v36, 2.0, -v22
	v_sub_f16_e32 v32, v15, v32
	v_fma_f16 v38, v38, 2.0, -v41
	v_sub_f16_e32 v11, v14, v11
	v_sub_f16_e32 v23, v25, v23
	;; [unrolled: 1-line block ×4, first 2 shown]
	v_fma_f16 v43, v28, s2, v24
	v_fma_f16 v34, v34, 2.0, -v25
	v_fma_f16 v17, v17, 2.0, -v21
	;; [unrolled: 1-line block ×7, first 2 shown]
	v_add_f16_e32 v21, v37, v21
	v_fma_f16 v25, v25, 2.0, -v23
	v_fma_f16 v16, v16, 2.0, -v35
	v_add_f16_e32 v42, v39, v42
	v_fma_f16 v26, v26, 2.0, -v18
	v_fma_f16 v44, v38, s2, v36
	v_fma_f16 v38, v38, s2, v43
	;; [unrolled: 1-line block ×3, first 2 shown]
	v_fma_f16 v37, v37, 2.0, -v21
	v_fma_f16 v39, v39, 2.0, -v42
	v_sub_f16_e32 v15, v12, v15
	v_fma_f16 v28, v28, s3, v44
	v_fma_f16 v44, v41, s3, v22
	;; [unrolled: 1-line block ×3, first 2 shown]
	v_sub_f16_e32 v16, v14, v16
	v_fma_f16 v43, v26, s2, v25
	v_fma_f16 v12, v12, 2.0, -v15
	v_fma_f16 v19, v19, s3, v44
	v_fma_f16 v14, v14, 2.0, -v16
	v_fma_f16 v44, v39, s2, v37
	v_fma_f16 v39, v39, s2, v43
	;; [unrolled: 1-line block ×3, first 2 shown]
	v_sub_f16_e32 v29, v13, v29
	v_sub_f16_e32 v27, v33, v27
	;; [unrolled: 1-line block ×4, first 2 shown]
	v_fma_f16 v24, v24, 2.0, -v38
	v_fma_f16 v26, v26, s3, v44
	v_fma_f16 v25, v25, 2.0, -v39
	v_fma_f16 v44, v42, s3, v21
	v_fma_f16 v42, v42, s2, v43
	v_sub_f16_e32 v43, v12, v14
	v_fma_f16 v33, v33, 2.0, -v27
	v_fma_f16 v30, v30, 2.0, -v31
	;; [unrolled: 1-line block ×3, first 2 shown]
	v_sub_f16_e32 v32, v29, v32
	v_add_f16_e32 v27, v7, v27
	v_fma_f16 v37, v37, 2.0, -v26
	v_sub_f16_e32 v35, v17, v35
	v_add_f16_e32 v31, v11, v31
	v_fma_f16 v18, v18, s3, v44
	v_fma_f16 v44, v12, 2.0, -v43
	v_fma_f16 v12, v25, s6, v24
	v_fma_f16 v13, v13, 2.0, -v29
	v_fma_f16 v34, v34, 2.0, -v17
	;; [unrolled: 1-line block ×6, first 2 shown]
	v_fma_f16 v14, v37, s6, v36
	v_fma_f16 v12, v37, s7, v12
	v_fma_f16 v22, v22, 2.0, -v19
	v_fma_f16 v21, v21, 2.0, -v18
	v_fma_f16 v37, v25, s8, v14
	v_fma_f16 v14, v24, 2.0, -v12
	v_fma_f16 v24, v17, s2, v29
	v_fma_f16 v25, v11, s2, v7
	v_fma_f16 v40, v40, 2.0, -v41
	v_fma_f16 v23, v23, 2.0, -v42
	v_fma_f16 v11, v11, s2, v24
	v_fma_f16 v45, v17, s3, v25
	;; [unrolled: 1-line block ×3, first 2 shown]
	v_sub_f16_e32 v33, v13, v33
	v_sub_f16_e32 v30, v34, v30
	v_fma_f16 v17, v29, 2.0, -v11
	v_fma_f16 v29, v7, 2.0, -v45
	v_fma_f16 v7, v23, s7, v40
	v_fma_f16 v46, v23, s9, v24
	v_fma_f16 v24, v35, s3, v32
	v_fma_f16 v34, v34, 2.0, -v30
	v_fma_f16 v7, v21, s6, v7
	v_sub_f16_e32 v16, v33, v16
	v_add_f16_e32 v30, v15, v30
	v_fma_f16 v25, v31, s3, v27
	v_fma_f16 v24, v31, s2, v24
	v_fma_f16 v13, v13, 2.0, -v33
	v_fma_f16 v21, v40, 2.0, -v7
	;; [unrolled: 1-line block ×5, first 2 shown]
	v_fma_f16 v15, v39, s8, v38
	v_fma_f16 v31, v35, s3, v25
	v_fma_f16 v25, v32, 2.0, -v24
	v_fma_f16 v32, v42, s9, v41
	v_fma_f16 v35, v18, s9, v19
	;; [unrolled: 1-line block ×7, first 2 shown]
	v_fma_f16 v23, v38, 2.0, -v15
	v_fma_f16 v38, v19, 2.0, -v32
	v_mov_b32_e32 v19, 0x3c0
	v_cndmask_b32_e32 v19, 0, v19, vcc
	v_or_b32_e32 v19, v19, v20
	v_sub_f16_e32 v34, v13, v34
	v_lshlrev_b32_e32 v19, 1, v19
	v_fma_f16 v13, v13, 2.0, -v34
	v_add3_u32 v4, 0, v19, v4
	v_fma_f16 v35, v41, 2.0, -v18
	ds_write_b16 v4, v13
	ds_write_b16 v4, v14 offset:120
	ds_write_b16 v4, v17 offset:240
	;; [unrolled: 1-line block ×15, first 2 shown]
	s_waitcnt lgkmcnt(0)
	s_barrier
	ds_read_u16 v7, v0
	ds_read_u16 v12, v10 offset:480
	ds_read_u16 v14, v10 offset:720
	;; [unrolled: 1-line block ×15, first 2 shown]
	v_fma_f16 v36, v36, 2.0, -v37
	v_fma_f16 v28, v28, 2.0, -v26
	;; [unrolled: 1-line block ×3, first 2 shown]
	s_waitcnt lgkmcnt(0)
	s_barrier
	ds_write_b16 v4, v44
	ds_write_b16 v4, v36 offset:120
	ds_write_b16 v4, v29 offset:240
	;; [unrolled: 1-line block ×15, first 2 shown]
	s_waitcnt lgkmcnt(0)
	s_barrier
	s_and_saveexec_b64 s[2:3], s[0:1]
	s_cbranch_execz .LBB0_29
; %bb.28:
	v_mov_b32_e32 v4, v8
	v_lshlrev_b64 v[26:27], 2, v[3:4]
	v_mov_b32_e32 v4, s13
	v_add_co_u32_e32 v26, vcc, s12, v26
	v_addc_co_u32_e32 v27, vcc, v4, v27, vcc
	v_add_co_u32_e32 v28, vcc, 0x1000, v26
	v_addc_co_u32_e32 v29, vcc, 0, v27, vcc
	global_load_dword v30, v[28:29], off offset:3064
	global_load_dword v31, v[28:29], off offset:2584
	;; [unrolled: 1-line block ×8, first 2 shown]
	v_mul_lo_u32 v26, s5, v5
	v_mul_lo_u32 v6, s4, v6
	v_mad_u64_u32 v[4:5], s[0:1], s4, v5, 0
	ds_read_u16 v27, v10 offset:3600
	ds_read_u16 v28, v10 offset:3360
	;; [unrolled: 1-line block ×15, first 2 shown]
	ds_read_u16 v0, v0
	v_add3_u32 v5, v5, v6, v26
	s_mov_b32 s0, 0x88888889
	v_lshlrev_b64 v[4:5], 2, v[4:5]
	s_movk_i32 s1, 0x780
	v_add_co_u32_e32 v4, vcc, s10, v4
	s_waitcnt vmcnt(7) lgkmcnt(14)
	v_mul_f16_sdwa v6, v27, v30 dst_sel:DWORD dst_unused:UNUSED_PAD src0_sel:DWORD src1_sel:WORD_1
	v_mul_f16_sdwa v26, v25, v30 dst_sel:DWORD dst_unused:UNUSED_PAD src0_sel:DWORD src1_sel:WORD_1
	s_waitcnt vmcnt(6)
	v_mul_f16_sdwa v48, v28, v31 dst_sel:DWORD dst_unused:UNUSED_PAD src0_sel:DWORD src1_sel:WORD_1
	v_mul_f16_sdwa v49, v24, v31 dst_sel:DWORD dst_unused:UNUSED_PAD src0_sel:DWORD src1_sel:WORD_1
	s_waitcnt vmcnt(5)
	v_mul_f16_sdwa v51, v23, v32 dst_sel:DWORD dst_unused:UNUSED_PAD src0_sel:DWORD src1_sel:WORD_1
	s_waitcnt vmcnt(3)
	v_mul_f16_sdwa v55, v22, v34 dst_sel:DWORD dst_unused:UNUSED_PAD src0_sel:DWORD src1_sel:WORD_1
	s_waitcnt vmcnt(1) lgkmcnt(3)
	v_mul_f16_sdwa v58, v46, v36 dst_sel:DWORD dst_unused:UNUSED_PAD src0_sel:DWORD src1_sel:WORD_1
	v_fma_f16 v6, v25, v30, -v6
	v_fma_f16 v25, v30, v27, v26
	v_fma_f16 v24, v24, v31, -v48
	v_fma_f16 v26, v31, v28, v49
	v_fma_f16 v31, v13, v36, -v58
	v_mul_f16_sdwa v13, v13, v36 dst_sel:DWORD dst_unused:UNUSED_PAD src0_sel:DWORD src1_sel:WORD_1
	v_mul_f16_sdwa v50, v29, v32 dst_sel:DWORD dst_unused:UNUSED_PAD src0_sel:DWORD src1_sel:WORD_1
	;; [unrolled: 1-line block ×3, first 2 shown]
	v_fma_f16 v27, v32, v29, v51
	v_fma_f16 v29, v34, v39, v55
	;; [unrolled: 1-line block ×3, first 2 shown]
	s_waitcnt vmcnt(0) lgkmcnt(2)
	v_mul_f16_sdwa v36, v47, v37 dst_sel:DWORD dst_unused:UNUSED_PAD src0_sel:DWORD src1_sel:WORD_1
	v_mul_hi_u32 v39, v3, s0
	v_fma_f16 v36, v11, v37, -v36
	v_mul_f16_sdwa v11, v11, v37 dst_sel:DWORD dst_unused:UNUSED_PAD src0_sel:DWORD src1_sel:WORD_1
	v_fma_f16 v11, v37, v47, v11
	s_waitcnt lgkmcnt(0)
	v_sub_f16_e32 v11, v0, v11
	v_fma_f16 v37, v0, 2.0, -v11
	v_lshrrev_b32_e32 v0, 9, v39
	v_mul_u32_u24_e32 v0, 0x3c0, v0
	v_sub_u32_e32 v39, v3, v0
	v_mov_b32_e32 v0, s11
	v_addc_co_u32_e32 v5, vcc, v0, v5, vcc
	v_lshlrev_b64 v[0:1], 2, v[1:2]
	v_sub_f16_e32 v36, v7, v36
	v_fma_f16 v7, v7, 2.0, -v36
	v_add_co_u32_e32 v2, vcc, v4, v0
	v_addc_co_u32_e32 v4, vcc, v5, v1, vcc
	v_pack_b32_f16 v5, v7, v37
	v_add_u32_e32 v7, 0x78, v3
	v_lshlrev_b32_e32 v0, 2, v39
	v_mul_hi_u32 v37, v7, s0
	v_add_co_u32_e32 v0, vcc, v2, v0
	v_addc_co_u32_e32 v1, vcc, 0, v4, vcc
	global_store_dword v[0:1], v5, off
	v_pack_b32_f16 v5, v36, v11
	global_store_dword v[0:1], v5, off offset:3840
	v_lshrrev_b32_e32 v0, 9, v37
	v_mul_u32_u24_e32 v1, 0x3c0, v0
	v_sub_u32_e32 v1, v7, v1
	v_mad_u32_u24 v7, v0, s1, v1
	v_lshlrev_b64 v[0:1], 2, v[7:8]
	v_sub_f16_e32 v31, v15, v31
	v_sub_f16_e32 v13, v9, v13
	v_fma_f16 v15, v15, 2.0, -v31
	v_fma_f16 v9, v9, 2.0, -v13
	v_add_co_u32_e32 v0, vcc, v2, v0
	v_addc_co_u32_e32 v1, vcc, v4, v1, vcc
	v_pack_b32_f16 v5, v15, v9
	global_store_dword v[0:1], v5, off
	v_add_u32_e32 v7, 0x3c0, v7
	v_add_u32_e32 v5, 0xf0, v3
	v_lshlrev_b64 v[0:1], 2, v[7:8]
	v_mul_hi_u32 v7, v5, s0
	v_add_co_u32_e32 v0, vcc, v2, v0
	v_addc_co_u32_e32 v1, vcc, v4, v1, vcc
	v_pack_b32_f16 v9, v31, v13
	global_store_dword v[0:1], v9, off
	v_lshrrev_b32_e32 v0, 9, v7
	v_mul_u32_u24_e32 v1, 0x3c0, v0
	v_sub_u32_e32 v1, v5, v1
	v_mul_f16_sdwa v56, v40, v35 dst_sel:DWORD dst_unused:UNUSED_PAD src0_sel:DWORD src1_sel:WORD_1
	v_mul_f16_sdwa v57, v21, v35 dst_sel:DWORD dst_unused:UNUSED_PAD src0_sel:DWORD src1_sel:WORD_1
	v_mad_u32_u24 v7, v0, s1, v1
	v_fma_f16 v21, v21, v35, -v56
	v_fma_f16 v30, v35, v40, v57
	v_lshlrev_b64 v[0:1], 2, v[7:8]
	v_sub_f16_e32 v21, v12, v21
	v_sub_f16_e32 v30, v10, v30
	v_fma_f16 v12, v12, 2.0, -v21
	v_fma_f16 v10, v10, 2.0, -v30
	v_add_co_u32_e32 v0, vcc, v2, v0
	v_addc_co_u32_e32 v1, vcc, v4, v1, vcc
	v_pack_b32_f16 v5, v12, v10
	global_store_dword v[0:1], v5, off
	v_add_u32_e32 v7, 0x3c0, v7
	v_add_u32_e32 v5, 0x168, v3
	v_lshlrev_b64 v[0:1], 2, v[7:8]
	v_mul_hi_u32 v7, v5, s0
	v_add_co_u32_e32 v0, vcc, v2, v0
	v_addc_co_u32_e32 v1, vcc, v4, v1, vcc
	v_pack_b32_f16 v9, v21, v30
	global_store_dword v[0:1], v9, off
	v_lshrrev_b32_e32 v0, 9, v7
	v_mul_u32_u24_e32 v1, 0x3c0, v0
	v_sub_u32_e32 v1, v5, v1
	v_mad_u32_u24 v7, v0, s1, v1
	v_fma_f16 v22, v22, v34, -v54
	v_lshlrev_b64 v[0:1], 2, v[7:8]
	v_mul_f16_sdwa v53, v20, v33 dst_sel:DWORD dst_unused:UNUSED_PAD src0_sel:DWORD src1_sel:WORD_1
	v_sub_f16_e32 v22, v14, v22
	v_sub_f16_e32 v29, v45, v29
	v_mul_f16_sdwa v52, v38, v33 dst_sel:DWORD dst_unused:UNUSED_PAD src0_sel:DWORD src1_sel:WORD_1
	v_fma_f16 v28, v33, v38, v53
	v_fma_f16 v14, v14, 2.0, -v22
	v_fma_f16 v38, v45, 2.0, -v29
	v_add_co_u32_e32 v0, vcc, v2, v0
	v_addc_co_u32_e32 v1, vcc, v4, v1, vcc
	v_pack_b32_f16 v5, v14, v38
	global_store_dword v[0:1], v5, off
	v_add_u32_e32 v7, 0x3c0, v7
	v_add_u32_e32 v5, 0x1e0, v3
	v_lshlrev_b64 v[0:1], 2, v[7:8]
	v_mul_hi_u32 v7, v5, s0
	v_add_co_u32_e32 v0, vcc, v2, v0
	v_addc_co_u32_e32 v1, vcc, v4, v1, vcc
	v_pack_b32_f16 v9, v22, v29
	global_store_dword v[0:1], v9, off
	v_lshrrev_b32_e32 v0, 9, v7
	v_mul_u32_u24_e32 v1, 0x3c0, v0
	v_sub_u32_e32 v1, v5, v1
	v_mad_u32_u24 v7, v0, s1, v1
	v_fma_f16 v20, v20, v33, -v52
	v_lshlrev_b64 v[0:1], 2, v[7:8]
	v_sub_f16_e32 v20, v16, v20
	v_sub_f16_e32 v28, v44, v28
	v_fma_f16 v16, v16, 2.0, -v20
	v_fma_f16 v35, v44, 2.0, -v28
	v_add_co_u32_e32 v0, vcc, v2, v0
	v_addc_co_u32_e32 v1, vcc, v4, v1, vcc
	v_pack_b32_f16 v5, v16, v35
	global_store_dword v[0:1], v5, off
	v_add_u32_e32 v7, 0x3c0, v7
	v_add_u32_e32 v5, 0x258, v3
	v_lshlrev_b64 v[0:1], 2, v[7:8]
	v_mul_hi_u32 v7, v5, s0
	v_add_co_u32_e32 v0, vcc, v2, v0
	v_addc_co_u32_e32 v1, vcc, v4, v1, vcc
	v_pack_b32_f16 v9, v20, v28
	global_store_dword v[0:1], v9, off
	v_lshrrev_b32_e32 v0, 9, v7
	v_mul_u32_u24_e32 v1, 0x3c0, v0
	v_sub_u32_e32 v1, v5, v1
	v_mad_u32_u24 v7, v0, s1, v1
	v_fma_f16 v23, v23, v32, -v50
	v_lshlrev_b64 v[0:1], 2, v[7:8]
	v_sub_f16_e32 v23, v17, v23
	v_sub_f16_e32 v27, v43, v27
	v_fma_f16 v17, v17, 2.0, -v23
	v_fma_f16 v34, v43, 2.0, -v27
	v_add_co_u32_e32 v0, vcc, v2, v0
	v_addc_co_u32_e32 v1, vcc, v4, v1, vcc
	v_pack_b32_f16 v5, v17, v34
	global_store_dword v[0:1], v5, off
	v_add_u32_e32 v7, 0x3c0, v7
	v_add_u32_e32 v5, 0x2d0, v3
	v_lshlrev_b64 v[0:1], 2, v[7:8]
	v_mul_hi_u32 v7, v5, s0
	v_add_co_u32_e32 v0, vcc, v2, v0
	v_addc_co_u32_e32 v1, vcc, v4, v1, vcc
	v_pack_b32_f16 v9, v23, v27
	global_store_dword v[0:1], v9, off
	v_lshrrev_b32_e32 v0, 9, v7
	v_mul_u32_u24_e32 v1, 0x3c0, v0
	v_sub_u32_e32 v1, v5, v1
	v_mad_u32_u24 v7, v0, s1, v1
	v_lshlrev_b64 v[0:1], 2, v[7:8]
	v_sub_f16_e32 v24, v18, v24
	v_sub_f16_e32 v26, v42, v26
	v_fma_f16 v18, v18, 2.0, -v24
	v_fma_f16 v33, v42, 2.0, -v26
	v_add_co_u32_e32 v0, vcc, v2, v0
	v_addc_co_u32_e32 v1, vcc, v4, v1, vcc
	v_pack_b32_f16 v5, v18, v33
	v_add_u32_e32 v7, 0x3c0, v7
	v_add_u32_e32 v3, 0x348, v3
	global_store_dword v[0:1], v5, off
	v_lshlrev_b64 v[0:1], 2, v[7:8]
	v_mul_hi_u32 v5, v3, s0
	v_add_co_u32_e32 v0, vcc, v2, v0
	v_addc_co_u32_e32 v1, vcc, v4, v1, vcc
	v_pack_b32_f16 v7, v24, v26
	global_store_dword v[0:1], v7, off
	v_lshrrev_b32_e32 v0, 9, v5
	v_mul_u32_u24_e32 v1, 0x3c0, v0
	v_sub_u32_e32 v1, v3, v1
	v_mad_u32_u24 v7, v0, s1, v1
	v_lshlrev_b64 v[0:1], 2, v[7:8]
	v_sub_f16_e32 v6, v19, v6
	v_sub_f16_e32 v25, v41, v25
	v_fma_f16 v19, v19, 2.0, -v6
	v_fma_f16 v32, v41, 2.0, -v25
	v_add_co_u32_e32 v0, vcc, v2, v0
	v_addc_co_u32_e32 v1, vcc, v4, v1, vcc
	v_pack_b32_f16 v3, v19, v32
	v_add_u32_e32 v7, 0x3c0, v7
	global_store_dword v[0:1], v3, off
	v_lshlrev_b64 v[0:1], 2, v[7:8]
	v_add_co_u32_e32 v0, vcc, v2, v0
	v_addc_co_u32_e32 v1, vcc, v4, v1, vcc
	v_pack_b32_f16 v2, v6, v25
	global_store_dword v[0:1], v2, off
.LBB0_29:
	s_endpgm
	.section	.rodata,"a",@progbits
	.p2align	6, 0x0
	.amdhsa_kernel fft_rtc_fwd_len1920_factors_10_6_16_2_wgs_240_tpt_120_halfLds_half_op_CI_CI_unitstride_sbrr_dirReg
		.amdhsa_group_segment_fixed_size 0
		.amdhsa_private_segment_fixed_size 0
		.amdhsa_kernarg_size 104
		.amdhsa_user_sgpr_count 6
		.amdhsa_user_sgpr_private_segment_buffer 1
		.amdhsa_user_sgpr_dispatch_ptr 0
		.amdhsa_user_sgpr_queue_ptr 0
		.amdhsa_user_sgpr_kernarg_segment_ptr 1
		.amdhsa_user_sgpr_dispatch_id 0
		.amdhsa_user_sgpr_flat_scratch_init 0
		.amdhsa_user_sgpr_private_segment_size 0
		.amdhsa_uses_dynamic_stack 0
		.amdhsa_system_sgpr_private_segment_wavefront_offset 0
		.amdhsa_system_sgpr_workgroup_id_x 1
		.amdhsa_system_sgpr_workgroup_id_y 0
		.amdhsa_system_sgpr_workgroup_id_z 0
		.amdhsa_system_sgpr_workgroup_info 0
		.amdhsa_system_vgpr_workitem_id 0
		.amdhsa_next_free_vgpr 82
		.amdhsa_next_free_sgpr 28
		.amdhsa_reserve_vcc 1
		.amdhsa_reserve_flat_scratch 0
		.amdhsa_float_round_mode_32 0
		.amdhsa_float_round_mode_16_64 0
		.amdhsa_float_denorm_mode_32 3
		.amdhsa_float_denorm_mode_16_64 3
		.amdhsa_dx10_clamp 1
		.amdhsa_ieee_mode 1
		.amdhsa_fp16_overflow 0
		.amdhsa_exception_fp_ieee_invalid_op 0
		.amdhsa_exception_fp_denorm_src 0
		.amdhsa_exception_fp_ieee_div_zero 0
		.amdhsa_exception_fp_ieee_overflow 0
		.amdhsa_exception_fp_ieee_underflow 0
		.amdhsa_exception_fp_ieee_inexact 0
		.amdhsa_exception_int_div_zero 0
	.end_amdhsa_kernel
	.text
.Lfunc_end0:
	.size	fft_rtc_fwd_len1920_factors_10_6_16_2_wgs_240_tpt_120_halfLds_half_op_CI_CI_unitstride_sbrr_dirReg, .Lfunc_end0-fft_rtc_fwd_len1920_factors_10_6_16_2_wgs_240_tpt_120_halfLds_half_op_CI_CI_unitstride_sbrr_dirReg
                                        ; -- End function
	.section	.AMDGPU.csdata,"",@progbits
; Kernel info:
; codeLenInByte = 10152
; NumSgprs: 32
; NumVgprs: 82
; ScratchSize: 0
; MemoryBound: 0
; FloatMode: 240
; IeeeMode: 1
; LDSByteSize: 0 bytes/workgroup (compile time only)
; SGPRBlocks: 3
; VGPRBlocks: 20
; NumSGPRsForWavesPerEU: 32
; NumVGPRsForWavesPerEU: 82
; Occupancy: 3
; WaveLimiterHint : 1
; COMPUTE_PGM_RSRC2:SCRATCH_EN: 0
; COMPUTE_PGM_RSRC2:USER_SGPR: 6
; COMPUTE_PGM_RSRC2:TRAP_HANDLER: 0
; COMPUTE_PGM_RSRC2:TGID_X_EN: 1
; COMPUTE_PGM_RSRC2:TGID_Y_EN: 0
; COMPUTE_PGM_RSRC2:TGID_Z_EN: 0
; COMPUTE_PGM_RSRC2:TIDIG_COMP_CNT: 0
	.type	__hip_cuid_35b331e6608e463b,@object ; @__hip_cuid_35b331e6608e463b
	.section	.bss,"aw",@nobits
	.globl	__hip_cuid_35b331e6608e463b
__hip_cuid_35b331e6608e463b:
	.byte	0                               ; 0x0
	.size	__hip_cuid_35b331e6608e463b, 1

	.ident	"AMD clang version 19.0.0git (https://github.com/RadeonOpenCompute/llvm-project roc-6.4.0 25133 c7fe45cf4b819c5991fe208aaa96edf142730f1d)"
	.section	".note.GNU-stack","",@progbits
	.addrsig
	.addrsig_sym __hip_cuid_35b331e6608e463b
	.amdgpu_metadata
---
amdhsa.kernels:
  - .args:
      - .actual_access:  read_only
        .address_space:  global
        .offset:         0
        .size:           8
        .value_kind:     global_buffer
      - .offset:         8
        .size:           8
        .value_kind:     by_value
      - .actual_access:  read_only
        .address_space:  global
        .offset:         16
        .size:           8
        .value_kind:     global_buffer
      - .actual_access:  read_only
        .address_space:  global
        .offset:         24
        .size:           8
        .value_kind:     global_buffer
      - .actual_access:  read_only
        .address_space:  global
        .offset:         32
        .size:           8
        .value_kind:     global_buffer
      - .offset:         40
        .size:           8
        .value_kind:     by_value
      - .actual_access:  read_only
        .address_space:  global
        .offset:         48
        .size:           8
        .value_kind:     global_buffer
      - .actual_access:  read_only
        .address_space:  global
        .offset:         56
        .size:           8
        .value_kind:     global_buffer
      - .offset:         64
        .size:           4
        .value_kind:     by_value
      - .actual_access:  read_only
        .address_space:  global
        .offset:         72
        .size:           8
        .value_kind:     global_buffer
      - .actual_access:  read_only
        .address_space:  global
        .offset:         80
        .size:           8
        .value_kind:     global_buffer
      - .actual_access:  read_only
        .address_space:  global
        .offset:         88
        .size:           8
        .value_kind:     global_buffer
      - .actual_access:  write_only
        .address_space:  global
        .offset:         96
        .size:           8
        .value_kind:     global_buffer
    .group_segment_fixed_size: 0
    .kernarg_segment_align: 8
    .kernarg_segment_size: 104
    .language:       OpenCL C
    .language_version:
      - 2
      - 0
    .max_flat_workgroup_size: 240
    .name:           fft_rtc_fwd_len1920_factors_10_6_16_2_wgs_240_tpt_120_halfLds_half_op_CI_CI_unitstride_sbrr_dirReg
    .private_segment_fixed_size: 0
    .sgpr_count:     32
    .sgpr_spill_count: 0
    .symbol:         fft_rtc_fwd_len1920_factors_10_6_16_2_wgs_240_tpt_120_halfLds_half_op_CI_CI_unitstride_sbrr_dirReg.kd
    .uniform_work_group_size: 1
    .uses_dynamic_stack: false
    .vgpr_count:     82
    .vgpr_spill_count: 0
    .wavefront_size: 64
amdhsa.target:   amdgcn-amd-amdhsa--gfx906
amdhsa.version:
  - 1
  - 2
...

	.end_amdgpu_metadata
